;; amdgpu-corpus repo=ROCm/rocFFT kind=compiled arch=gfx906 opt=O3
	.text
	.amdgcn_target "amdgcn-amd-amdhsa--gfx906"
	.amdhsa_code_object_version 6
	.protected	fft_rtc_fwd_len1215_factors_5_3_3_3_3_3_wgs_243_tpt_243_halfLds_dp_ip_CI_unitstride_sbrr_dirReg ; -- Begin function fft_rtc_fwd_len1215_factors_5_3_3_3_3_3_wgs_243_tpt_243_halfLds_dp_ip_CI_unitstride_sbrr_dirReg
	.globl	fft_rtc_fwd_len1215_factors_5_3_3_3_3_3_wgs_243_tpt_243_halfLds_dp_ip_CI_unitstride_sbrr_dirReg
	.p2align	8
	.type	fft_rtc_fwd_len1215_factors_5_3_3_3_3_3_wgs_243_tpt_243_halfLds_dp_ip_CI_unitstride_sbrr_dirReg,@function
fft_rtc_fwd_len1215_factors_5_3_3_3_3_3_wgs_243_tpt_243_halfLds_dp_ip_CI_unitstride_sbrr_dirReg: ; @fft_rtc_fwd_len1215_factors_5_3_3_3_3_3_wgs_243_tpt_243_halfLds_dp_ip_CI_unitstride_sbrr_dirReg
; %bb.0:
	s_load_dwordx2 s[12:13], s[4:5], 0x50
	s_load_dwordx4 s[8:11], s[4:5], 0x0
	s_load_dwordx2 s[2:3], s[4:5], 0x18
	v_mul_u32_u24_e32 v1, 0x10e, v0
	v_add_u32_sdwa v5, s6, v1 dst_sel:DWORD dst_unused:UNUSED_PAD src0_sel:DWORD src1_sel:WORD_1
	v_mov_b32_e32 v3, 0
	s_waitcnt lgkmcnt(0)
	v_cmp_lt_u64_e64 s[0:1], s[10:11], 2
	v_mov_b32_e32 v1, 0
	v_mov_b32_e32 v6, v3
	s_and_b64 vcc, exec, s[0:1]
	v_mov_b32_e32 v2, 0
	s_cbranch_vccnz .LBB0_8
; %bb.1:
	s_load_dwordx2 s[0:1], s[4:5], 0x10
	s_add_u32 s6, s2, 8
	s_addc_u32 s7, s3, 0
	v_mov_b32_e32 v1, 0
	v_mov_b32_e32 v2, 0
	s_waitcnt lgkmcnt(0)
	s_add_u32 s14, s0, 8
	s_addc_u32 s15, s1, 0
	s_mov_b64 s[16:17], 1
.LBB0_2:                                ; =>This Inner Loop Header: Depth=1
	s_load_dwordx2 s[18:19], s[14:15], 0x0
                                        ; implicit-def: $vgpr7_vgpr8
	s_waitcnt lgkmcnt(0)
	v_or_b32_e32 v4, s19, v6
	v_cmp_ne_u64_e32 vcc, 0, v[3:4]
	s_and_saveexec_b64 s[0:1], vcc
	s_xor_b64 s[20:21], exec, s[0:1]
	s_cbranch_execz .LBB0_4
; %bb.3:                                ;   in Loop: Header=BB0_2 Depth=1
	v_cvt_f32_u32_e32 v4, s18
	v_cvt_f32_u32_e32 v7, s19
	s_sub_u32 s0, 0, s18
	s_subb_u32 s1, 0, s19
	v_mac_f32_e32 v4, 0x4f800000, v7
	v_rcp_f32_e32 v4, v4
	v_mul_f32_e32 v4, 0x5f7ffffc, v4
	v_mul_f32_e32 v7, 0x2f800000, v4
	v_trunc_f32_e32 v7, v7
	v_mac_f32_e32 v4, 0xcf800000, v7
	v_cvt_u32_f32_e32 v7, v7
	v_cvt_u32_f32_e32 v4, v4
	v_mul_lo_u32 v8, s0, v7
	v_mul_hi_u32 v9, s0, v4
	v_mul_lo_u32 v11, s1, v4
	v_mul_lo_u32 v10, s0, v4
	v_add_u32_e32 v8, v9, v8
	v_add_u32_e32 v8, v8, v11
	v_mul_hi_u32 v9, v4, v10
	v_mul_lo_u32 v11, v4, v8
	v_mul_hi_u32 v13, v4, v8
	v_mul_hi_u32 v12, v7, v10
	v_mul_lo_u32 v10, v7, v10
	v_mul_hi_u32 v14, v7, v8
	v_add_co_u32_e32 v9, vcc, v9, v11
	v_addc_co_u32_e32 v11, vcc, 0, v13, vcc
	v_mul_lo_u32 v8, v7, v8
	v_add_co_u32_e32 v9, vcc, v9, v10
	v_addc_co_u32_e32 v9, vcc, v11, v12, vcc
	v_addc_co_u32_e32 v10, vcc, 0, v14, vcc
	v_add_co_u32_e32 v8, vcc, v9, v8
	v_addc_co_u32_e32 v9, vcc, 0, v10, vcc
	v_add_co_u32_e32 v4, vcc, v4, v8
	v_addc_co_u32_e32 v7, vcc, v7, v9, vcc
	v_mul_lo_u32 v8, s0, v7
	v_mul_hi_u32 v9, s0, v4
	v_mul_lo_u32 v10, s1, v4
	v_mul_lo_u32 v11, s0, v4
	v_add_u32_e32 v8, v9, v8
	v_add_u32_e32 v8, v8, v10
	v_mul_lo_u32 v12, v4, v8
	v_mul_hi_u32 v13, v4, v11
	v_mul_hi_u32 v14, v4, v8
	;; [unrolled: 1-line block ×3, first 2 shown]
	v_mul_lo_u32 v11, v7, v11
	v_mul_hi_u32 v9, v7, v8
	v_add_co_u32_e32 v12, vcc, v13, v12
	v_addc_co_u32_e32 v13, vcc, 0, v14, vcc
	v_mul_lo_u32 v8, v7, v8
	v_add_co_u32_e32 v11, vcc, v12, v11
	v_addc_co_u32_e32 v10, vcc, v13, v10, vcc
	v_addc_co_u32_e32 v9, vcc, 0, v9, vcc
	v_add_co_u32_e32 v8, vcc, v10, v8
	v_addc_co_u32_e32 v9, vcc, 0, v9, vcc
	v_add_co_u32_e32 v4, vcc, v4, v8
	v_addc_co_u32_e32 v9, vcc, v7, v9, vcc
	v_mad_u64_u32 v[7:8], s[0:1], v5, v9, 0
	v_mul_hi_u32 v10, v5, v4
	v_add_co_u32_e32 v11, vcc, v10, v7
	v_addc_co_u32_e32 v12, vcc, 0, v8, vcc
	v_mad_u64_u32 v[7:8], s[0:1], v6, v4, 0
	v_mad_u64_u32 v[9:10], s[0:1], v6, v9, 0
	v_add_co_u32_e32 v4, vcc, v11, v7
	v_addc_co_u32_e32 v4, vcc, v12, v8, vcc
	v_addc_co_u32_e32 v7, vcc, 0, v10, vcc
	v_add_co_u32_e32 v4, vcc, v4, v9
	v_addc_co_u32_e32 v9, vcc, 0, v7, vcc
	v_mul_lo_u32 v10, s19, v4
	v_mul_lo_u32 v11, s18, v9
	v_mad_u64_u32 v[7:8], s[0:1], s18, v4, 0
	v_add3_u32 v8, v8, v11, v10
	v_sub_u32_e32 v10, v6, v8
	v_mov_b32_e32 v11, s19
	v_sub_co_u32_e32 v7, vcc, v5, v7
	v_subb_co_u32_e64 v10, s[0:1], v10, v11, vcc
	v_subrev_co_u32_e64 v11, s[0:1], s18, v7
	v_subbrev_co_u32_e64 v10, s[0:1], 0, v10, s[0:1]
	v_cmp_le_u32_e64 s[0:1], s19, v10
	v_cndmask_b32_e64 v12, 0, -1, s[0:1]
	v_cmp_le_u32_e64 s[0:1], s18, v11
	v_cndmask_b32_e64 v11, 0, -1, s[0:1]
	v_cmp_eq_u32_e64 s[0:1], s19, v10
	v_cndmask_b32_e64 v10, v12, v11, s[0:1]
	v_add_co_u32_e64 v11, s[0:1], 2, v4
	v_addc_co_u32_e64 v12, s[0:1], 0, v9, s[0:1]
	v_add_co_u32_e64 v13, s[0:1], 1, v4
	v_addc_co_u32_e64 v14, s[0:1], 0, v9, s[0:1]
	v_subb_co_u32_e32 v8, vcc, v6, v8, vcc
	v_cmp_ne_u32_e64 s[0:1], 0, v10
	v_cmp_le_u32_e32 vcc, s19, v8
	v_cndmask_b32_e64 v10, v14, v12, s[0:1]
	v_cndmask_b32_e64 v12, 0, -1, vcc
	v_cmp_le_u32_e32 vcc, s18, v7
	v_cndmask_b32_e64 v7, 0, -1, vcc
	v_cmp_eq_u32_e32 vcc, s19, v8
	v_cndmask_b32_e32 v7, v12, v7, vcc
	v_cmp_ne_u32_e32 vcc, 0, v7
	v_cndmask_b32_e64 v7, v13, v11, s[0:1]
	v_cndmask_b32_e32 v8, v9, v10, vcc
	v_cndmask_b32_e32 v7, v4, v7, vcc
.LBB0_4:                                ;   in Loop: Header=BB0_2 Depth=1
	s_andn2_saveexec_b64 s[0:1], s[20:21]
	s_cbranch_execz .LBB0_6
; %bb.5:                                ;   in Loop: Header=BB0_2 Depth=1
	v_cvt_f32_u32_e32 v4, s18
	s_sub_i32 s20, 0, s18
	v_rcp_iflag_f32_e32 v4, v4
	v_mul_f32_e32 v4, 0x4f7ffffe, v4
	v_cvt_u32_f32_e32 v4, v4
	v_mul_lo_u32 v7, s20, v4
	v_mul_hi_u32 v7, v4, v7
	v_add_u32_e32 v4, v4, v7
	v_mul_hi_u32 v4, v5, v4
	v_mul_lo_u32 v7, v4, s18
	v_add_u32_e32 v8, 1, v4
	v_sub_u32_e32 v7, v5, v7
	v_subrev_u32_e32 v9, s18, v7
	v_cmp_le_u32_e32 vcc, s18, v7
	v_cndmask_b32_e32 v7, v7, v9, vcc
	v_cndmask_b32_e32 v4, v4, v8, vcc
	v_add_u32_e32 v8, 1, v4
	v_cmp_le_u32_e32 vcc, s18, v7
	v_cndmask_b32_e32 v7, v4, v8, vcc
	v_mov_b32_e32 v8, v3
.LBB0_6:                                ;   in Loop: Header=BB0_2 Depth=1
	s_or_b64 exec, exec, s[0:1]
	v_mul_lo_u32 v4, v8, s18
	v_mul_lo_u32 v11, v7, s19
	v_mad_u64_u32 v[9:10], s[0:1], v7, s18, 0
	s_load_dwordx2 s[0:1], s[6:7], 0x0
	s_add_u32 s16, s16, 1
	v_add3_u32 v4, v10, v11, v4
	v_sub_co_u32_e32 v5, vcc, v5, v9
	v_subb_co_u32_e32 v4, vcc, v6, v4, vcc
	s_waitcnt lgkmcnt(0)
	v_mul_lo_u32 v4, s0, v4
	v_mul_lo_u32 v6, s1, v5
	v_mad_u64_u32 v[1:2], s[0:1], s0, v5, v[1:2]
	s_addc_u32 s17, s17, 0
	s_add_u32 s6, s6, 8
	v_add3_u32 v2, v6, v2, v4
	v_mov_b32_e32 v4, s10
	v_mov_b32_e32 v5, s11
	s_addc_u32 s7, s7, 0
	v_cmp_ge_u64_e32 vcc, s[16:17], v[4:5]
	s_add_u32 s14, s14, 8
	s_addc_u32 s15, s15, 0
	s_cbranch_vccnz .LBB0_9
; %bb.7:                                ;   in Loop: Header=BB0_2 Depth=1
	v_mov_b32_e32 v5, v7
	v_mov_b32_e32 v6, v8
	s_branch .LBB0_2
.LBB0_8:
	v_mov_b32_e32 v8, v6
	v_mov_b32_e32 v7, v5
.LBB0_9:
	s_lshl_b64 s[0:1], s[10:11], 3
	s_add_u32 s0, s2, s0
	s_addc_u32 s1, s3, s1
	s_load_dwordx2 s[2:3], s[0:1], 0x0
	s_load_dwordx2 s[6:7], s[4:5], 0x20
                                        ; implicit-def: $vgpr10_vgpr11
                                        ; implicit-def: $vgpr14_vgpr15
                                        ; implicit-def: $vgpr18_vgpr19
	s_waitcnt lgkmcnt(0)
	v_mad_u64_u32 v[1:2], s[0:1], s2, v7, v[1:2]
	v_mul_lo_u32 v3, s2, v8
	v_mul_lo_u32 v4, s3, v7
	s_mov_b32 s0, 0x10db20b
	v_mul_hi_u32 v5, v0, s0
	v_cmp_gt_u64_e64 s[0:1], s[6:7], v[7:8]
	v_add3_u32 v2, v4, v2, v3
	v_lshlrev_b64 v[22:23], 4, v[1:2]
	v_mul_u32_u24_e32 v3, 0xf3, v5
	v_sub_u32_e32 v20, v0, v3
                                        ; implicit-def: $vgpr6_vgpr7
                                        ; implicit-def: $vgpr2_vgpr3
	s_and_saveexec_b64 s[2:3], s[0:1]
	s_cbranch_execz .LBB0_11
; %bb.10:
	v_mov_b32_e32 v21, 0
	v_mov_b32_e32 v0, s13
	v_add_co_u32_e32 v2, vcc, s12, v22
	v_addc_co_u32_e32 v3, vcc, v0, v23, vcc
	v_lshlrev_b64 v[0:1], 4, v[20:21]
	s_movk_i32 s4, 0x1000
	v_add_co_u32_e32 v8, vcc, v2, v0
	v_addc_co_u32_e32 v9, vcc, v3, v1, vcc
	v_add_co_u32_e32 v24, vcc, s4, v8
	v_addc_co_u32_e32 v25, vcc, 0, v9, vcc
	s_movk_i32 s4, 0x2000
	v_add_co_u32_e32 v26, vcc, s4, v8
	v_addc_co_u32_e32 v27, vcc, 0, v9, vcc
	v_add_co_u32_e32 v28, vcc, 0x3000, v8
	global_load_dwordx4 v[0:3], v[8:9], off
	global_load_dwordx4 v[4:7], v[8:9], off offset:3888
	v_addc_co_u32_e32 v29, vcc, 0, v9, vcc
	global_load_dwordx4 v[16:19], v[24:25], off offset:3680
	global_load_dwordx4 v[12:15], v[26:27], off offset:3472
	;; [unrolled: 1-line block ×3, first 2 shown]
.LBB0_11:
	s_or_b64 exec, exec, s[2:3]
	s_waitcnt vmcnt(1)
	v_add_f64 v[24:25], v[12:13], v[16:17]
	s_waitcnt vmcnt(0)
	v_add_f64 v[30:31], v[8:9], v[4:5]
	v_add_f64 v[32:33], v[4:5], v[0:1]
	v_add_f64 v[34:35], v[6:7], -v[10:11]
	v_add_f64 v[26:27], v[4:5], -v[16:17]
	;; [unrolled: 1-line block ×4, first 2 shown]
	s_mov_b32 s6, 0x134454ff
	v_fma_f64 v[24:25], v[24:25], -0.5, v[0:1]
	v_fma_f64 v[0:1], v[30:31], -0.5, v[0:1]
	s_mov_b32 s7, 0x3fee6f0e
	v_add_f64 v[32:33], v[16:17], v[32:33]
	s_mov_b32 s11, 0xbfee6f0e
	s_mov_b32 s10, s6
	v_add_f64 v[30:31], v[16:17], -v[4:5]
	v_add_f64 v[38:39], v[12:13], -v[8:9]
	v_fma_f64 v[40:41], v[34:35], s[6:7], v[24:25]
	v_add_f64 v[26:27], v[28:29], v[26:27]
	v_fma_f64 v[28:29], v[36:37], s[10:11], v[0:1]
	v_fma_f64 v[0:1], v[36:37], s[6:7], v[0:1]
	;; [unrolled: 1-line block ×3, first 2 shown]
	s_mov_b32 s4, 0x4755a5e
	s_mov_b32 s5, 0x3fe2cf23
	v_add_f64 v[32:33], v[12:13], v[32:33]
	v_fma_f64 v[40:41], v[36:37], s[4:5], v[40:41]
	s_mov_b32 s17, 0xbfe2cf23
	s_mov_b32 s16, s4
	v_add_f64 v[30:31], v[38:39], v[30:31]
	v_fma_f64 v[28:29], v[34:35], s[4:5], v[28:29]
	v_fma_f64 v[0:1], v[34:35], s[16:17], v[0:1]
	;; [unrolled: 1-line block ×3, first 2 shown]
	s_mov_b32 s14, 0x372fe950
	s_mov_b32 s15, 0x3fd3c6ef
	v_add_f64 v[32:33], v[8:9], v[32:33]
	v_fma_f64 v[35:36], v[26:27], s[14:15], v[40:41]
	v_mad_u32_u24 v34, v20, 40, 0
	v_fma_f64 v[28:29], v[30:31], s[14:15], v[28:29]
	v_fma_f64 v[0:1], v[30:31], s[14:15], v[0:1]
	;; [unrolled: 1-line block ×3, first 2 shown]
	v_lshlrev_b32_e32 v21, 5, v20
	ds_write2_b64 v34, v[32:33], v[35:36] offset1:1
	ds_write2_b64 v34, v[28:29], v[0:1] offset0:2 offset1:3
	ds_write_b64 v34, v[26:27] offset:32
	v_sub_u32_e32 v28, v34, v21
	s_waitcnt lgkmcnt(0)
	s_barrier
	ds_read_b64 v[24:25], v28
	ds_read_b64 v[32:33], v28 offset:3240
	ds_read_b64 v[30:31], v28 offset:6480
	v_sub_u32_e32 v21, 0, v21
	s_movk_i32 s2, 0xa2
	v_cmp_gt_u32_e64 s[2:3], s2, v20
	v_add_u32_e32 v21, v34, v21
                                        ; implicit-def: $vgpr28_vgpr29
	s_and_saveexec_b64 s[18:19], s[2:3]
	s_cbranch_execz .LBB0_13
; %bb.12:
	ds_read_b64 v[0:1], v21 offset:1944
	ds_read_b64 v[26:27], v21 offset:5184
	;; [unrolled: 1-line block ×3, first 2 shown]
.LBB0_13:
	s_or_b64 exec, exec, s[18:19]
	v_add_f64 v[35:36], v[14:15], v[18:19]
	v_add_f64 v[37:38], v[10:11], v[6:7]
	;; [unrolled: 1-line block ×3, first 2 shown]
	v_add_f64 v[4:5], v[4:5], -v[8:9]
	v_add_f64 v[8:9], v[16:17], -v[12:13]
	;; [unrolled: 1-line block ×4, first 2 shown]
	s_waitcnt lgkmcnt(0)
	v_fma_f64 v[12:13], v[35:36], -0.5, v[2:3]
	v_fma_f64 v[2:3], v[37:38], -0.5, v[2:3]
	v_add_f64 v[35:36], v[10:11], -v[14:15]
	v_add_f64 v[18:19], v[18:19], v[39:40]
	v_add_f64 v[37:38], v[14:15], -v[10:11]
	s_barrier
	v_fma_f64 v[39:40], v[4:5], s[10:11], v[12:13]
	v_fma_f64 v[41:42], v[8:9], s[6:7], v[2:3]
	;; [unrolled: 1-line block ×4, first 2 shown]
	v_add_f64 v[16:17], v[35:36], v[16:17]
	v_add_f64 v[14:15], v[14:15], v[18:19]
	;; [unrolled: 1-line block ×3, first 2 shown]
	v_fma_f64 v[18:19], v[8:9], s[16:17], v[39:40]
	v_fma_f64 v[35:36], v[4:5], s[16:17], v[41:42]
	;; [unrolled: 1-line block ×4, first 2 shown]
	v_add_f64 v[8:9], v[10:11], v[14:15]
	v_fma_f64 v[10:11], v[16:17], s[14:15], v[18:19]
	v_fma_f64 v[12:13], v[6:7], s[14:15], v[35:36]
	v_fma_f64 v[2:3], v[6:7], s[14:15], v[2:3]
	v_fma_f64 v[6:7], v[16:17], s[14:15], v[4:5]
	ds_write2_b64 v34, v[8:9], v[10:11] offset1:1
	ds_write2_b64 v34, v[12:13], v[2:3] offset0:2 offset1:3
	ds_write_b64 v34, v[6:7] offset:32
	s_waitcnt lgkmcnt(0)
	s_barrier
	ds_read_b64 v[4:5], v21
	ds_read_b64 v[12:13], v21 offset:3240
	ds_read_b64 v[10:11], v21 offset:6480
                                        ; implicit-def: $vgpr8_vgpr9
	s_and_saveexec_b64 s[4:5], s[2:3]
	s_cbranch_execz .LBB0_15
; %bb.14:
	ds_read_b64 v[2:3], v21 offset:1944
	ds_read_b64 v[6:7], v21 offset:5184
	;; [unrolled: 1-line block ×3, first 2 shown]
.LBB0_15:
	s_or_b64 exec, exec, s[4:5]
	s_movk_i32 s4, 0xcd
	v_mul_lo_u16_sdwa v14, v20, s4 dst_sel:DWORD dst_unused:UNUSED_PAD src0_sel:BYTE_0 src1_sel:DWORD
	v_lshrrev_b16_e32 v45, 10, v14
	v_mul_lo_u16_e32 v14, 5, v45
	v_sub_u16_e32 v46, v20, v14
	v_mov_b32_e32 v14, 5
	v_lshlrev_b32_sdwa v18, v14, v46 dst_sel:DWORD dst_unused:UNUSED_PAD src0_sel:DWORD src1_sel:BYTE_0
	global_load_dwordx4 v[14:17], v18, s[8:9]
	global_load_dwordx4 v[34:37], v18, s[8:9] offset:16
	v_add_u32_e32 v38, 0xf3, v20
	s_mov_b32 s4, 0xcccd
	s_mov_b32 s7, 0xbfebb67a
	s_waitcnt vmcnt(1) lgkmcnt(1)
	v_mul_f64 v[18:19], v[12:13], v[16:17]
	v_mul_f64 v[43:44], v[32:33], v[16:17]
	v_mul_u32_u24_sdwa v16, v38, s4 dst_sel:DWORD dst_unused:UNUSED_PAD src0_sel:WORD_0 src1_sel:DWORD
	v_lshrrev_b32_e32 v47, 18, v16
	v_mul_lo_u16_e32 v16, 5, v47
	v_sub_u16_e32 v48, v38, v16
	v_lshlrev_b32_e32 v49, 5, v48
	global_load_dwordx4 v[39:42], v49, s[8:9]
	v_fma_f64 v[16:17], v[32:33], v[14:15], -v[18:19]
	v_fma_f64 v[32:33], v[12:13], v[14:15], v[43:44]
	global_load_dwordx4 v[12:15], v49, s[8:9] offset:16
	s_waitcnt vmcnt(2) lgkmcnt(0)
	v_mul_f64 v[18:19], v[10:11], v[36:37]
	v_mul_f64 v[36:37], v[30:31], v[36:37]
	s_mov_b32 s4, 0xe8584caa
	s_mov_b32 s5, 0x3febb67a
	;; [unrolled: 1-line block ×3, first 2 shown]
	s_waitcnt vmcnt(0)
	s_barrier
	v_fma_f64 v[30:31], v[30:31], v[34:35], -v[18:19]
	v_fma_f64 v[18:19], v[10:11], v[34:35], v[36:37]
	v_mul_f64 v[43:44], v[6:7], v[41:42]
	v_mul_f64 v[34:35], v[26:27], v[41:42]
	;; [unrolled: 1-line block ×4, first 2 shown]
	v_fma_f64 v[26:27], v[26:27], v[39:40], -v[43:44]
	v_fma_f64 v[34:35], v[6:7], v[39:40], v[34:35]
	v_add_f64 v[6:7], v[16:17], v[30:31]
	v_fma_f64 v[28:29], v[28:29], v[12:13], -v[10:11]
	v_fma_f64 v[36:37], v[8:9], v[12:13], v[14:15]
	v_add_f64 v[10:11], v[24:25], v[16:17]
	v_add_f64 v[14:15], v[32:33], -v[18:19]
	v_mov_b32_e32 v43, 3
	v_add_f64 v[12:13], v[0:1], v[26:27]
	v_fma_f64 v[6:7], v[6:7], -0.5, v[24:25]
	v_add_f64 v[8:9], v[26:27], v[28:29]
	v_add_f64 v[39:40], v[34:35], -v[36:37]
	v_mul_u32_u24_e32 v25, 0x78, v45
	v_lshlrev_b32_sdwa v45, v43, v46 dst_sel:DWORD dst_unused:UNUSED_PAD src0_sel:DWORD src1_sel:BYTE_0
	v_add_f64 v[43:44], v[10:11], v[30:31]
	v_mul_lo_u16_e32 v24, 15, v47
	v_fma_f64 v[41:42], v[8:9], -0.5, v[0:1]
	v_add_f64 v[0:1], v[12:13], v[28:29]
	v_fma_f64 v[12:13], v[14:15], s[4:5], v[6:7]
	v_fma_f64 v[6:7], v[14:15], s[6:7], v[6:7]
	;; [unrolled: 1-line block ×4, first 2 shown]
	v_add3_u32 v39, 0, v25, v45
	v_lshlrev_b32_e32 v25, 3, v48
	ds_write2_b64 v39, v[43:44], v[12:13] offset1:5
	ds_write_b64 v39, v[6:7] offset:80
	s_and_saveexec_b64 s[4:5], s[2:3]
	s_cbranch_execz .LBB0_17
; %bb.16:
	v_lshlrev_b32_e32 v6, 3, v24
	v_add3_u32 v6, 0, v25, v6
	ds_write2_b64 v6, v[0:1], v[8:9] offset1:5
	ds_write_b64 v6, v[10:11] offset:80
.LBB0_17:
	s_or_b64 exec, exec, s[4:5]
	s_waitcnt lgkmcnt(0)
	s_barrier
	ds_read_b64 v[6:7], v21
	ds_read_b64 v[12:13], v21 offset:3240
	ds_read_b64 v[14:15], v21 offset:6480
	s_and_saveexec_b64 s[4:5], s[2:3]
	s_cbranch_execz .LBB0_19
; %bb.18:
	ds_read_b64 v[0:1], v21 offset:1944
	ds_read_b64 v[8:9], v21 offset:5184
	;; [unrolled: 1-line block ×3, first 2 shown]
.LBB0_19:
	s_or_b64 exec, exec, s[4:5]
	v_add_f64 v[40:41], v[32:33], v[18:19]
	v_add_f64 v[42:43], v[34:35], v[36:37]
	;; [unrolled: 1-line block ×3, first 2 shown]
	v_add_f64 v[16:17], v[16:17], -v[30:31]
	v_add_f64 v[30:31], v[2:3], v[34:35]
	v_add_f64 v[26:27], v[26:27], -v[28:29]
	s_mov_b32 s4, 0xe8584caa
	s_mov_b32 s5, 0xbfebb67a
	v_fma_f64 v[4:5], v[40:41], -0.5, v[4:5]
	v_fma_f64 v[28:29], v[42:43], -0.5, v[2:3]
	s_mov_b32 s7, 0x3febb67a
	s_mov_b32 s6, s4
	v_add_f64 v[32:33], v[32:33], v[18:19]
	v_add_f64 v[2:3], v[30:31], v[36:37]
	s_waitcnt lgkmcnt(0)
	s_barrier
	v_fma_f64 v[30:31], v[16:17], s[4:5], v[4:5]
	v_fma_f64 v[4:5], v[16:17], s[6:7], v[4:5]
	;; [unrolled: 1-line block ×4, first 2 shown]
	ds_write2_b64 v39, v[32:33], v[30:31] offset1:5
	ds_write_b64 v39, v[4:5] offset:80
	s_and_saveexec_b64 s[4:5], s[2:3]
	s_cbranch_execz .LBB0_21
; %bb.20:
	v_lshlrev_b32_e32 v4, 3, v24
	v_add3_u32 v4, 0, v25, v4
	ds_write2_b64 v4, v[2:3], v[18:19] offset1:5
	ds_write_b64 v4, v[16:17] offset:80
.LBB0_21:
	s_or_b64 exec, exec, s[4:5]
	s_waitcnt lgkmcnt(0)
	s_barrier
	ds_read_b64 v[4:5], v21
	ds_read_b64 v[24:25], v21 offset:3240
	ds_read_b64 v[26:27], v21 offset:6480
	v_lshl_add_u32 v39, v20, 3, 0
	s_and_saveexec_b64 s[4:5], s[2:3]
	s_cbranch_execz .LBB0_23
; %bb.22:
	ds_read_b64 v[18:19], v21 offset:5184
	ds_read_b64 v[2:3], v39 offset:1944
	;; [unrolled: 1-line block ×3, first 2 shown]
.LBB0_23:
	s_or_b64 exec, exec, s[4:5]
	s_movk_i32 s4, 0x89
	v_mul_lo_u16_sdwa v28, v20, s4 dst_sel:DWORD dst_unused:UNUSED_PAD src0_sel:BYTE_0 src1_sel:DWORD
	v_lshrrev_b16_e32 v58, 11, v28
	v_mul_lo_u16_e32 v28, 15, v58
	v_sub_u16_e32 v59, v20, v28
	v_mov_b32_e32 v28, 5
	v_lshlrev_b32_sdwa v28, v28, v59 dst_sel:DWORD dst_unused:UNUSED_PAD src0_sel:DWORD src1_sel:BYTE_0
	s_mov_b32 s4, 0x8889
	global_load_dwordx4 v[40:43], v28, s[8:9] offset:160
	global_load_dwordx4 v[44:47], v28, s[8:9] offset:176
	v_mul_u32_u24_sdwa v28, v38, s4 dst_sel:DWORD dst_unused:UNUSED_PAD src0_sel:WORD_0 src1_sel:DWORD
	v_lshrrev_b32_e32 v60, 19, v28
	v_mul_lo_u16_e32 v28, 15, v60
	v_sub_u16_e32 v61, v38, v28
	v_lshlrev_b32_e32 v28, 5, v61
	global_load_dwordx4 v[48:51], v28, s[8:9] offset:160
	global_load_dwordx4 v[52:55], v28, s[8:9] offset:176
	s_mov_b32 s4, 0xe8584caa
	s_mov_b32 s5, 0x3febb67a
	;; [unrolled: 1-line block ×4, first 2 shown]
	s_waitcnt vmcnt(0) lgkmcnt(0)
	s_barrier
	v_mul_f64 v[28:29], v[24:25], v[42:43]
	v_mul_f64 v[32:33], v[26:27], v[46:47]
	;; [unrolled: 1-line block ×6, first 2 shown]
	v_fma_f64 v[30:31], v[12:13], v[40:41], -v[28:29]
	v_fma_f64 v[34:35], v[14:15], v[44:45], -v[32:33]
	v_mul_f64 v[50:51], v[8:9], v[50:51]
	v_mul_f64 v[54:55], v[10:11], v[54:55]
	v_fma_f64 v[28:29], v[8:9], v[48:49], -v[36:37]
	v_fma_f64 v[32:33], v[10:11], v[52:53], -v[56:57]
	v_fma_f64 v[36:37], v[24:25], v[40:41], v[42:43]
	v_fma_f64 v[24:25], v[26:27], v[44:45], v[46:47]
	v_add_f64 v[8:9], v[30:31], v[34:35]
	v_fma_f64 v[18:19], v[18:19], v[48:49], v[50:51]
	v_fma_f64 v[26:27], v[16:17], v[52:53], v[54:55]
	v_add_f64 v[12:13], v[6:7], v[30:31]
	v_add_f64 v[14:15], v[0:1], v[28:29]
	;; [unrolled: 1-line block ×3, first 2 shown]
	v_mov_b32_e32 v44, 3
	v_add_f64 v[16:17], v[36:37], -v[24:25]
	v_fma_f64 v[7:8], v[8:9], -0.5, v[6:7]
	v_lshlrev_b32_sdwa v46, v44, v59 dst_sel:DWORD dst_unused:UNUSED_PAD src0_sel:DWORD src1_sel:BYTE_0
	v_add_f64 v[40:41], v[18:19], -v[26:27]
	v_add_f64 v[44:45], v[12:13], v[34:35]
	v_mul_u32_u24_e32 v9, 0x168, v58
	v_fma_f64 v[42:43], v[10:11], -0.5, v[0:1]
	v_add_f64 v[0:1], v[14:15], v[32:33]
	v_mul_lo_u16_e32 v6, 45, v60
	v_fma_f64 v[14:15], v[16:17], s[4:5], v[7:8]
	v_fma_f64 v[7:8], v[16:17], s[6:7], v[7:8]
	;; [unrolled: 1-line block ×4, first 2 shown]
	v_add3_u32 v40, 0, v9, v46
	ds_write2_b64 v40, v[44:45], v[14:15] offset1:15
	ds_write_b64 v40, v[7:8] offset:240
	v_lshlrev_b32_e32 v7, 3, v61
	s_and_saveexec_b64 s[4:5], s[2:3]
	s_cbranch_execz .LBB0_25
; %bb.24:
	v_lshlrev_b32_e32 v8, 3, v6
	v_add3_u32 v8, 0, v7, v8
	ds_write2_b64 v8, v[0:1], v[10:11] offset1:15
	ds_write_b64 v8, v[12:13] offset:240
.LBB0_25:
	s_or_b64 exec, exec, s[4:5]
	s_waitcnt lgkmcnt(0)
	s_barrier
	ds_read_b64 v[8:9], v21
	ds_read_b64 v[14:15], v21 offset:3240
	ds_read_b64 v[16:17], v21 offset:6480
	s_and_saveexec_b64 s[4:5], s[2:3]
	s_cbranch_execz .LBB0_27
; %bb.26:
	ds_read_b64 v[10:11], v21 offset:5184
	ds_read_b64 v[0:1], v39 offset:1944
	;; [unrolled: 1-line block ×3, first 2 shown]
.LBB0_27:
	s_or_b64 exec, exec, s[4:5]
	v_add_f64 v[41:42], v[36:37], v[24:25]
	v_add_f64 v[43:44], v[18:19], v[26:27]
	;; [unrolled: 1-line block ×3, first 2 shown]
	v_add_f64 v[30:31], v[30:31], -v[34:35]
	v_add_f64 v[18:19], v[2:3], v[18:19]
	v_add_f64 v[28:29], v[28:29], -v[32:33]
	s_mov_b32 s4, 0xe8584caa
	s_mov_b32 s5, 0xbfebb67a
	v_fma_f64 v[4:5], v[41:42], -0.5, v[4:5]
	v_fma_f64 v[32:33], v[43:44], -0.5, v[2:3]
	s_mov_b32 s7, 0x3febb67a
	s_mov_b32 s6, s4
	v_add_f64 v[24:25], v[36:37], v[24:25]
	v_add_f64 v[2:3], v[18:19], v[26:27]
	s_waitcnt lgkmcnt(0)
	s_barrier
	v_fma_f64 v[26:27], v[30:31], s[4:5], v[4:5]
	v_fma_f64 v[30:31], v[30:31], s[6:7], v[4:5]
	;; [unrolled: 1-line block ×4, first 2 shown]
	ds_write2_b64 v40, v[24:25], v[26:27] offset1:15
	ds_write_b64 v40, v[30:31] offset:240
	s_and_saveexec_b64 s[4:5], s[2:3]
	s_cbranch_execz .LBB0_29
; %bb.28:
	v_lshlrev_b32_e32 v6, 3, v6
	v_add3_u32 v6, 0, v7, v6
	ds_write2_b64 v6, v[2:3], v[18:19] offset1:15
	ds_write_b64 v6, v[4:5] offset:240
.LBB0_29:
	s_or_b64 exec, exec, s[4:5]
	s_waitcnt lgkmcnt(0)
	s_barrier
	ds_read_b64 v[6:7], v21
	ds_read_b64 v[24:25], v21 offset:3240
	ds_read_b64 v[26:27], v21 offset:6480
	s_and_saveexec_b64 s[4:5], s[2:3]
	s_cbranch_execz .LBB0_31
; %bb.30:
	ds_read_b64 v[18:19], v21 offset:5184
	ds_read_b64 v[2:3], v39 offset:1944
	;; [unrolled: 1-line block ×3, first 2 shown]
.LBB0_31:
	s_or_b64 exec, exec, s[4:5]
	s_movk_i32 s4, 0x2d83
	v_mul_u32_u24_sdwa v28, v38, s4 dst_sel:DWORD dst_unused:UNUSED_PAD src0_sel:WORD_0 src1_sel:DWORD
	s_movk_i32 s4, 0x6d
	v_mul_lo_u16_sdwa v30, v20, s4 dst_sel:DWORD dst_unused:UNUSED_PAD src0_sel:BYTE_0 src1_sel:DWORD
	v_sub_u16_sdwa v31, v20, v30 dst_sel:DWORD dst_unused:UNUSED_PAD src0_sel:DWORD src1_sel:BYTE_1
	v_lshrrev_b16_e32 v31, 1, v31
	v_and_b32_e32 v31, 0x7f, v31
	v_add_u16_sdwa v30, v31, v30 dst_sel:DWORD dst_unused:UNUSED_PAD src0_sel:DWORD src1_sel:BYTE_1
	v_lshrrev_b16_e32 v60, 5, v30
	v_lshrrev_b32_e32 v40, 19, v28
	v_mul_lo_u16_e32 v30, 45, v60
	v_mul_lo_u16_e32 v28, 45, v40
	v_mov_b32_e32 v29, 5
	v_sub_u16_e32 v61, v20, v30
	v_sub_u16_e32 v59, v38, v28
	v_lshlrev_b32_sdwa v29, v29, v61 dst_sel:DWORD dst_unused:UNUSED_PAD src0_sel:DWORD src1_sel:BYTE_0
	v_lshlrev_b32_e32 v28, 5, v59
	global_load_dwordx4 v[41:44], v29, s[8:9] offset:640
	global_load_dwordx4 v[45:48], v29, s[8:9] offset:656
	global_load_dwordx4 v[49:52], v28, s[8:9] offset:640
	global_load_dwordx4 v[53:56], v28, s[8:9] offset:656
	s_mov_b32 s4, 0xe8584caa
	s_mov_b32 s5, 0x3febb67a
	;; [unrolled: 1-line block ×4, first 2 shown]
	s_waitcnt vmcnt(0) lgkmcnt(0)
	s_barrier
	v_mul_f64 v[28:29], v[24:25], v[43:44]
	v_mul_f64 v[32:33], v[26:27], v[47:48]
	;; [unrolled: 1-line block ×8, first 2 shown]
	v_fma_f64 v[30:31], v[14:15], v[41:42], -v[28:29]
	v_fma_f64 v[34:35], v[16:17], v[45:46], -v[32:33]
	;; [unrolled: 1-line block ×4, first 2 shown]
	v_fma_f64 v[36:37], v[18:19], v[49:50], v[51:52]
	v_fma_f64 v[24:25], v[24:25], v[41:42], v[43:44]
	;; [unrolled: 1-line block ×4, first 2 shown]
	v_add_f64 v[10:11], v[30:31], v[34:35]
	v_add_f64 v[12:13], v[0:1], v[28:29]
	;; [unrolled: 1-line block ×4, first 2 shown]
	v_mov_b32_e32 v43, 3
	v_lshlrev_b32_sdwa v46, v43, v61 dst_sel:DWORD dst_unused:UNUSED_PAD src0_sel:DWORD src1_sel:BYTE_0
	v_add_f64 v[16:17], v[24:25], -v[18:19]
	v_add_f64 v[41:42], v[36:37], -v[26:27]
	v_fma_f64 v[8:9], v[10:11], -0.5, v[8:9]
	v_mul_u32_u24_e32 v45, 0x438, v60
	v_fma_f64 v[4:5], v[4:5], -0.5, v[0:1]
	v_add_f64 v[0:1], v[12:13], v[32:33]
	v_add_f64 v[14:15], v[14:15], v[34:35]
	v_fma_f64 v[43:44], v[16:17], s[4:5], v[8:9]
	v_fma_f64 v[16:17], v[16:17], s[6:7], v[8:9]
	;; [unrolled: 1-line block ×4, first 2 shown]
	v_add3_u32 v9, 0, v45, v46
	v_lshlrev_b32_e32 v8, 3, v59
	ds_write2_b64 v9, v[14:15], v[43:44] offset1:45
	ds_write_b64 v9, v[16:17] offset:720
	s_and_saveexec_b64 s[4:5], s[2:3]
	s_cbranch_execz .LBB0_33
; %bb.32:
	v_mul_lo_u16_e32 v4, 0x87, v40
	v_lshlrev_b32_e32 v4, 3, v4
	v_add3_u32 v4, 0, v8, v4
	ds_write2_b64 v4, v[0:1], v[10:11] offset1:45
	ds_write_b64 v4, v[12:13] offset:720
.LBB0_33:
	s_or_b64 exec, exec, s[4:5]
	s_waitcnt lgkmcnt(0)
	s_barrier
	ds_read_b64 v[4:5], v21
	ds_read_b64 v[14:15], v21 offset:3240
	ds_read_b64 v[16:17], v21 offset:6480
	s_and_saveexec_b64 s[4:5], s[2:3]
	s_cbranch_execz .LBB0_35
; %bb.34:
	ds_read_b64 v[10:11], v21 offset:5184
	ds_read_b64 v[0:1], v39 offset:1944
	;; [unrolled: 1-line block ×3, first 2 shown]
.LBB0_35:
	s_or_b64 exec, exec, s[4:5]
	v_add_f64 v[41:42], v[24:25], v[18:19]
	v_add_f64 v[43:44], v[36:37], v[26:27]
	;; [unrolled: 1-line block ×3, first 2 shown]
	v_add_f64 v[30:31], v[30:31], -v[34:35]
	v_add_f64 v[34:35], v[2:3], v[36:37]
	v_add_f64 v[28:29], v[28:29], -v[32:33]
	s_mov_b32 s4, 0xe8584caa
	s_mov_b32 s5, 0xbfebb67a
	v_fma_f64 v[32:33], v[41:42], -0.5, v[6:7]
	v_fma_f64 v[2:3], v[43:44], -0.5, v[2:3]
	s_mov_b32 s7, 0x3febb67a
	s_mov_b32 s6, s4
	v_add_f64 v[24:25], v[24:25], v[18:19]
	v_add_f64 v[6:7], v[34:35], v[26:27]
	s_waitcnt lgkmcnt(0)
	s_barrier
	v_fma_f64 v[26:27], v[30:31], s[4:5], v[32:33]
	v_fma_f64 v[18:19], v[28:29], s[4:5], v[2:3]
	;; [unrolled: 1-line block ×4, first 2 shown]
	ds_write2_b64 v9, v[24:25], v[26:27] offset1:45
	ds_write_b64 v9, v[30:31] offset:720
	s_and_saveexec_b64 s[4:5], s[2:3]
	s_cbranch_execz .LBB0_37
; %bb.36:
	v_mul_lo_u16_e32 v9, 0x87, v40
	v_lshlrev_b32_e32 v9, 3, v9
	v_add3_u32 v8, 0, v8, v9
	ds_write2_b64 v8, v[6:7], v[18:19] offset1:45
	ds_write_b64 v8, v[2:3] offset:720
.LBB0_37:
	s_or_b64 exec, exec, s[4:5]
	s_waitcnt lgkmcnt(0)
	s_barrier
	ds_read_b64 v[8:9], v21
	ds_read_b64 v[24:25], v21 offset:3240
	ds_read_b64 v[26:27], v21 offset:6480
	s_and_saveexec_b64 s[4:5], s[2:3]
	s_cbranch_execz .LBB0_39
; %bb.38:
	ds_read_b64 v[18:19], v21 offset:5184
	ds_read_b64 v[6:7], v39 offset:1944
	;; [unrolled: 1-line block ×3, first 2 shown]
.LBB0_39:
	s_or_b64 exec, exec, s[4:5]
	s_movk_i32 s4, 0x87
	v_add_u32_e32 v28, 0xffffff79, v20
	v_cmp_gt_u32_e32 vcc, s4, v20
	v_cndmask_b32_e32 v37, v28, v20, vcc
	v_lshlrev_b32_e32 v28, 1, v37
	v_mov_b32_e32 v29, 0
	v_lshlrev_b64 v[28:29], 4, v[28:29]
	v_mov_b32_e32 v30, s9
	v_add_co_u32_e32 v28, vcc, s8, v28
	v_addc_co_u32_e32 v29, vcc, v30, v29, vcc
	s_movk_i32 s4, 0x795d
	global_load_dwordx4 v[40:43], v[28:29], off offset:2096
	global_load_dwordx4 v[44:47], v[28:29], off offset:2080
	v_mul_u32_u24_sdwa v28, v38, s4 dst_sel:DWORD dst_unused:UNUSED_PAD src0_sel:WORD_0 src1_sel:DWORD
	v_lshrrev_b32_e32 v36, 22, v28
	v_mul_lo_u16_e32 v28, 0x87, v36
	v_sub_u16_e32 v56, v38, v28
	v_lshlrev_b32_e32 v28, 5, v56
	global_load_dwordx4 v[48:51], v28, s[8:9] offset:2080
	global_load_dwordx4 v[52:55], v28, s[8:9] offset:2096
	s_mov_b32 s4, 0xe8584caa
	s_movk_i32 s10, 0x86
	s_mov_b32 s5, 0x3febb67a
	s_mov_b32 s7, 0xbfebb67a
	;; [unrolled: 1-line block ×3, first 2 shown]
	v_cmp_lt_u32_e32 vcc, s10, v20
	v_lshlrev_b32_e32 v37, 3, v37
	s_waitcnt vmcnt(0) lgkmcnt(0)
	s_barrier
	v_mul_f64 v[30:31], v[26:27], v[42:43]
	v_mul_f64 v[28:29], v[24:25], v[46:47]
	;; [unrolled: 1-line block ×8, first 2 shown]
	v_fma_f64 v[28:29], v[14:15], v[44:45], -v[28:29]
	v_fma_f64 v[30:31], v[16:17], v[40:41], -v[30:31]
	v_fma_f64 v[24:25], v[24:25], v[44:45], v[46:47]
	v_mov_b32_e32 v44, 0xca8
	v_fma_f64 v[32:33], v[10:11], v[48:49], -v[32:33]
	v_fma_f64 v[34:35], v[12:13], v[52:53], -v[34:35]
	v_fma_f64 v[10:11], v[26:27], v[40:41], v[42:43]
	v_fma_f64 v[18:19], v[18:19], v[48:49], v[50:51]
	;; [unrolled: 1-line block ×3, first 2 shown]
	v_add_f64 v[12:13], v[28:29], v[30:31]
	v_add_f64 v[14:15], v[4:5], v[28:29]
	v_cndmask_b32_e32 v46, 0, v44, vcc
	v_add_f64 v[40:41], v[0:1], v[32:33]
	v_add_f64 v[2:3], v[32:33], v[34:35]
	v_add_f64 v[16:17], v[24:25], -v[10:11]
	v_fma_f64 v[4:5], v[12:13], -0.5, v[4:5]
	v_add_f64 v[12:13], v[18:19], -v[26:27]
	v_add_f64 v[14:15], v[14:15], v[30:31]
	v_fma_f64 v[42:43], v[2:3], -0.5, v[0:1]
	v_add_f64 v[0:1], v[40:41], v[34:35]
	v_add3_u32 v40, 0, v46, v37
	v_lshlrev_b32_e32 v37, 3, v56
	v_fma_f64 v[44:45], v[16:17], s[4:5], v[4:5]
	v_fma_f64 v[16:17], v[16:17], s[6:7], v[4:5]
	ds_write2_b64 v40, v[14:15], v[44:45] offset1:135
	ds_write_b64 v40, v[16:17] offset:2160
	v_fma_f64 v[2:3], v[12:13], s[4:5], v[42:43]
	v_fma_f64 v[4:5], v[12:13], s[6:7], v[42:43]
	s_and_saveexec_b64 s[4:5], s[2:3]
	s_cbranch_execz .LBB0_41
; %bb.40:
	v_mul_lo_u16_e32 v12, 0x195, v36
	v_lshlrev_b32_e32 v12, 3, v12
	v_add3_u32 v12, 0, v37, v12
	ds_write2_b64 v12, v[0:1], v[2:3] offset1:135
	ds_write_b64 v12, v[4:5] offset:2160
.LBB0_41:
	s_or_b64 exec, exec, s[4:5]
	s_waitcnt lgkmcnt(0)
	s_barrier
	ds_read_b64 v[12:13], v21
	ds_read_b64 v[14:15], v21 offset:3240
	ds_read_b64 v[16:17], v21 offset:6480
	s_and_saveexec_b64 s[4:5], s[2:3]
	s_cbranch_execz .LBB0_43
; %bb.42:
	ds_read_b64 v[2:3], v21 offset:5184
	ds_read_b64 v[0:1], v39 offset:1944
	;; [unrolled: 1-line block ×3, first 2 shown]
.LBB0_43:
	s_or_b64 exec, exec, s[4:5]
	v_add_f64 v[41:42], v[24:25], v[10:11]
	v_add_f64 v[43:44], v[18:19], v[26:27]
	;; [unrolled: 1-line block ×3, first 2 shown]
	v_add_f64 v[28:29], v[28:29], -v[30:31]
	v_add_f64 v[18:19], v[6:7], v[18:19]
	v_add_f64 v[30:31], v[32:33], -v[34:35]
	s_mov_b32 s4, 0xe8584caa
	s_mov_b32 s5, 0xbfebb67a
	v_fma_f64 v[8:9], v[41:42], -0.5, v[8:9]
	v_fma_f64 v[32:33], v[43:44], -0.5, v[6:7]
	s_mov_b32 s7, 0x3febb67a
	s_mov_b32 s6, s4
	v_add_f64 v[24:25], v[24:25], v[10:11]
	v_add_f64 v[6:7], v[18:19], v[26:27]
	s_waitcnt lgkmcnt(0)
	s_barrier
	v_fma_f64 v[18:19], v[28:29], s[4:5], v[8:9]
	v_fma_f64 v[26:27], v[28:29], s[6:7], v[8:9]
	;; [unrolled: 1-line block ×4, first 2 shown]
	ds_write2_b64 v40, v[24:25], v[18:19] offset1:135
	ds_write_b64 v40, v[26:27] offset:2160
	s_and_saveexec_b64 s[4:5], s[2:3]
	s_cbranch_execz .LBB0_45
; %bb.44:
	v_mul_lo_u16_e32 v18, 0x195, v36
	v_lshlrev_b32_e32 v18, 3, v18
	v_add3_u32 v18, 0, v37, v18
	ds_write2_b64 v18, v[6:7], v[8:9] offset1:135
	ds_write_b64 v18, v[10:11] offset:2160
.LBB0_45:
	s_or_b64 exec, exec, s[4:5]
	s_waitcnt lgkmcnt(0)
	s_barrier
	ds_read_b64 v[24:25], v21
	ds_read_b64 v[26:27], v21 offset:3240
	ds_read_b64 v[28:29], v21 offset:6480
	s_and_saveexec_b64 s[4:5], s[2:3]
	s_cbranch_execz .LBB0_47
; %bb.46:
	ds_read_b64 v[8:9], v21 offset:5184
	ds_read_b64 v[6:7], v39 offset:1944
	;; [unrolled: 1-line block ×3, first 2 shown]
.LBB0_47:
	s_or_b64 exec, exec, s[4:5]
	s_and_saveexec_b64 s[4:5], s[0:1]
	s_cbranch_execz .LBB0_50
; %bb.48:
	v_lshlrev_b32_e32 v18, 1, v20
	v_mov_b32_e32 v19, 0
	v_lshlrev_b64 v[30:31], 4, v[18:19]
	v_mov_b32_e32 v18, s9
	v_add_co_u32_e32 v21, vcc, s8, v30
	v_addc_co_u32_e32 v18, vcc, v18, v31, vcc
	v_add_co_u32_e32 v39, vcc, 0x1900, v21
	v_addc_co_u32_e32 v40, vcc, 0, v18, vcc
	;; [unrolled: 2-line block ×3, first 2 shown]
	global_load_dwordx4 v[30:33], v[41:42], off offset:2304
	global_load_dwordx4 v[34:37], v[39:40], off offset:16
	v_mov_b32_e32 v21, v19
	v_mov_b32_e32 v18, s13
	s_mov_b32 s0, 0xe8584caa
	s_mov_b32 s1, 0x3febb67a
	;; [unrolled: 1-line block ×4, first 2 shown]
	s_movk_i32 s6, 0x1000
	s_waitcnt vmcnt(1)
	v_mul_f64 v[39:40], v[14:15], v[32:33]
	s_waitcnt vmcnt(0)
	v_mul_f64 v[41:42], v[16:17], v[36:37]
	s_waitcnt lgkmcnt(1)
	v_mul_f64 v[32:33], v[26:27], v[32:33]
	s_waitcnt lgkmcnt(0)
	v_mul_f64 v[36:37], v[28:29], v[36:37]
	v_fma_f64 v[26:27], v[26:27], v[30:31], v[39:40]
	v_fma_f64 v[28:29], v[28:29], v[34:35], v[41:42]
	v_fma_f64 v[30:31], v[14:15], v[30:31], -v[32:33]
	v_fma_f64 v[16:17], v[16:17], v[34:35], -v[36:37]
	v_add_co_u32_e32 v32, vcc, s12, v22
	v_lshlrev_b64 v[14:15], 4, v[20:21]
	v_addc_co_u32_e32 v18, vcc, v18, v23, vcc
	v_add_f64 v[21:22], v[26:27], v[28:29]
	v_add_co_u32_e32 v14, vcc, v32, v14
	v_add_f64 v[32:33], v[30:31], v[16:17]
	v_add_f64 v[36:37], v[30:31], -v[16:17]
	v_add_f64 v[39:40], v[24:25], v[26:27]
	v_add_f64 v[30:31], v[12:13], v[30:31]
	v_addc_co_u32_e32 v15, vcc, v18, v15, vcc
	v_fma_f64 v[41:42], v[21:22], -0.5, v[24:25]
	v_add_f64 v[25:26], v[26:27], -v[28:29]
	v_fma_f64 v[12:13], v[32:33], -0.5, v[12:13]
	v_add_co_u32_e32 v34, vcc, 0x1000, v14
	v_add_f64 v[23:24], v[39:40], v[28:29]
	v_add_f64 v[21:22], v[30:31], v[16:17]
	v_addc_co_u32_e32 v35, vcc, 0, v15, vcc
	v_fma_f64 v[31:32], v[36:37], s[4:5], v[41:42]
	v_fma_f64 v[29:30], v[25:26], s[0:1], v[12:13]
	;; [unrolled: 1-line block ×4, first 2 shown]
	v_add_co_u32_e32 v12, vcc, 0x3000, v14
	v_addc_co_u32_e32 v13, vcc, 0, v15, vcc
	global_store_dwordx4 v[14:15], v[21:24], off
	global_store_dwordx4 v[34:35], v[29:32], off offset:2384
	global_store_dwordx4 v[12:13], v[25:28], off offset:672
	s_and_b64 exec, exec, s[2:3]
	s_cbranch_execz .LBB0_50
; %bb.49:
	v_add_u32_e32 v12, 0xffffff5e, v20
	v_cndmask_b32_e64 v12, v12, v38, s[2:3]
	v_lshlrev_b32_e32 v18, 1, v12
	v_lshlrev_b64 v[12:13], 4, v[18:19]
	v_mov_b32_e32 v16, s9
	v_add_co_u32_e32 v17, vcc, s8, v12
	v_addc_co_u32_e32 v16, vcc, v16, v13, vcc
	v_add_co_u32_e32 v12, vcc, 0x1900, v17
	v_addc_co_u32_e32 v13, vcc, 0, v16, vcc
	;; [unrolled: 2-line block ×3, first 2 shown]
	global_load_dwordx4 v[16:19], v[24:25], off offset:2304
	global_load_dwordx4 v[20:23], v[12:13], off offset:16
	s_waitcnt vmcnt(1)
	v_mul_f64 v[12:13], v[8:9], v[18:19]
	s_waitcnt vmcnt(0)
	v_mul_f64 v[24:25], v[10:11], v[22:23]
	v_mul_f64 v[18:19], v[2:3], v[18:19]
	;; [unrolled: 1-line block ×3, first 2 shown]
	v_fma_f64 v[2:3], v[2:3], v[16:17], -v[12:13]
	v_fma_f64 v[4:5], v[4:5], v[20:21], -v[24:25]
	v_fma_f64 v[8:9], v[8:9], v[16:17], v[18:19]
	v_fma_f64 v[10:11], v[10:11], v[20:21], v[22:23]
	v_add_co_u32_e32 v18, vcc, 0x2000, v14
	v_addc_co_u32_e32 v19, vcc, 0, v15, vcc
	v_add_f64 v[20:21], v[0:1], v[2:3]
	v_add_f64 v[12:13], v[2:3], v[4:5]
	v_add_f64 v[24:25], v[2:3], -v[4:5]
	v_add_f64 v[16:17], v[8:9], v[10:11]
	v_add_f64 v[22:23], v[8:9], -v[10:11]
	v_add_f64 v[8:9], v[6:7], v[8:9]
	v_fma_f64 v[12:13], v[12:13], -0.5, v[0:1]
	v_add_f64 v[0:1], v[20:21], v[4:5]
	v_fma_f64 v[16:17], v[16:17], -0.5, v[6:7]
	v_add_f64 v[2:3], v[8:9], v[10:11]
	v_fma_f64 v[4:5], v[22:23], s[0:1], v[12:13]
	v_fma_f64 v[8:9], v[22:23], s[4:5], v[12:13]
	;; [unrolled: 1-line block ×4, first 2 shown]
	v_add_co_u32_e32 v12, vcc, 0x4000, v14
	v_addc_co_u32_e32 v13, vcc, 0, v15, vcc
	global_store_dwordx4 v[14:15], v[0:3], off offset:3888
	global_store_dwordx4 v[18:19], v[4:7], off offset:2176
	;; [unrolled: 1-line block ×3, first 2 shown]
.LBB0_50:
	s_endpgm
	.section	.rodata,"a",@progbits
	.p2align	6, 0x0
	.amdhsa_kernel fft_rtc_fwd_len1215_factors_5_3_3_3_3_3_wgs_243_tpt_243_halfLds_dp_ip_CI_unitstride_sbrr_dirReg
		.amdhsa_group_segment_fixed_size 0
		.amdhsa_private_segment_fixed_size 0
		.amdhsa_kernarg_size 88
		.amdhsa_user_sgpr_count 6
		.amdhsa_user_sgpr_private_segment_buffer 1
		.amdhsa_user_sgpr_dispatch_ptr 0
		.amdhsa_user_sgpr_queue_ptr 0
		.amdhsa_user_sgpr_kernarg_segment_ptr 1
		.amdhsa_user_sgpr_dispatch_id 0
		.amdhsa_user_sgpr_flat_scratch_init 0
		.amdhsa_user_sgpr_private_segment_size 0
		.amdhsa_uses_dynamic_stack 0
		.amdhsa_system_sgpr_private_segment_wavefront_offset 0
		.amdhsa_system_sgpr_workgroup_id_x 1
		.amdhsa_system_sgpr_workgroup_id_y 0
		.amdhsa_system_sgpr_workgroup_id_z 0
		.amdhsa_system_sgpr_workgroup_info 0
		.amdhsa_system_vgpr_workitem_id 0
		.amdhsa_next_free_vgpr 62
		.amdhsa_next_free_sgpr 22
		.amdhsa_reserve_vcc 1
		.amdhsa_reserve_flat_scratch 0
		.amdhsa_float_round_mode_32 0
		.amdhsa_float_round_mode_16_64 0
		.amdhsa_float_denorm_mode_32 3
		.amdhsa_float_denorm_mode_16_64 3
		.amdhsa_dx10_clamp 1
		.amdhsa_ieee_mode 1
		.amdhsa_fp16_overflow 0
		.amdhsa_exception_fp_ieee_invalid_op 0
		.amdhsa_exception_fp_denorm_src 0
		.amdhsa_exception_fp_ieee_div_zero 0
		.amdhsa_exception_fp_ieee_overflow 0
		.amdhsa_exception_fp_ieee_underflow 0
		.amdhsa_exception_fp_ieee_inexact 0
		.amdhsa_exception_int_div_zero 0
	.end_amdhsa_kernel
	.text
.Lfunc_end0:
	.size	fft_rtc_fwd_len1215_factors_5_3_3_3_3_3_wgs_243_tpt_243_halfLds_dp_ip_CI_unitstride_sbrr_dirReg, .Lfunc_end0-fft_rtc_fwd_len1215_factors_5_3_3_3_3_3_wgs_243_tpt_243_halfLds_dp_ip_CI_unitstride_sbrr_dirReg
                                        ; -- End function
	.section	.AMDGPU.csdata,"",@progbits
; Kernel info:
; codeLenInByte = 6016
; NumSgprs: 26
; NumVgprs: 62
; ScratchSize: 0
; MemoryBound: 1
; FloatMode: 240
; IeeeMode: 1
; LDSByteSize: 0 bytes/workgroup (compile time only)
; SGPRBlocks: 3
; VGPRBlocks: 15
; NumSGPRsForWavesPerEU: 26
; NumVGPRsForWavesPerEU: 62
; Occupancy: 4
; WaveLimiterHint : 1
; COMPUTE_PGM_RSRC2:SCRATCH_EN: 0
; COMPUTE_PGM_RSRC2:USER_SGPR: 6
; COMPUTE_PGM_RSRC2:TRAP_HANDLER: 0
; COMPUTE_PGM_RSRC2:TGID_X_EN: 1
; COMPUTE_PGM_RSRC2:TGID_Y_EN: 0
; COMPUTE_PGM_RSRC2:TGID_Z_EN: 0
; COMPUTE_PGM_RSRC2:TIDIG_COMP_CNT: 0
	.type	__hip_cuid_972e631b2d245c58,@object ; @__hip_cuid_972e631b2d245c58
	.section	.bss,"aw",@nobits
	.globl	__hip_cuid_972e631b2d245c58
__hip_cuid_972e631b2d245c58:
	.byte	0                               ; 0x0
	.size	__hip_cuid_972e631b2d245c58, 1

	.ident	"AMD clang version 19.0.0git (https://github.com/RadeonOpenCompute/llvm-project roc-6.4.0 25133 c7fe45cf4b819c5991fe208aaa96edf142730f1d)"
	.section	".note.GNU-stack","",@progbits
	.addrsig
	.addrsig_sym __hip_cuid_972e631b2d245c58
	.amdgpu_metadata
---
amdhsa.kernels:
  - .args:
      - .actual_access:  read_only
        .address_space:  global
        .offset:         0
        .size:           8
        .value_kind:     global_buffer
      - .offset:         8
        .size:           8
        .value_kind:     by_value
      - .actual_access:  read_only
        .address_space:  global
        .offset:         16
        .size:           8
        .value_kind:     global_buffer
      - .actual_access:  read_only
        .address_space:  global
        .offset:         24
        .size:           8
        .value_kind:     global_buffer
      - .offset:         32
        .size:           8
        .value_kind:     by_value
      - .actual_access:  read_only
        .address_space:  global
        .offset:         40
        .size:           8
        .value_kind:     global_buffer
      - .actual_access:  read_only
        .address_space:  global
        .offset:         48
        .size:           8
        .value_kind:     global_buffer
      - .offset:         56
        .size:           4
        .value_kind:     by_value
      - .actual_access:  read_only
        .address_space:  global
        .offset:         64
        .size:           8
        .value_kind:     global_buffer
      - .actual_access:  read_only
        .address_space:  global
        .offset:         72
        .size:           8
        .value_kind:     global_buffer
      - .address_space:  global
        .offset:         80
        .size:           8
        .value_kind:     global_buffer
    .group_segment_fixed_size: 0
    .kernarg_segment_align: 8
    .kernarg_segment_size: 88
    .language:       OpenCL C
    .language_version:
      - 2
      - 0
    .max_flat_workgroup_size: 243
    .name:           fft_rtc_fwd_len1215_factors_5_3_3_3_3_3_wgs_243_tpt_243_halfLds_dp_ip_CI_unitstride_sbrr_dirReg
    .private_segment_fixed_size: 0
    .sgpr_count:     26
    .sgpr_spill_count: 0
    .symbol:         fft_rtc_fwd_len1215_factors_5_3_3_3_3_3_wgs_243_tpt_243_halfLds_dp_ip_CI_unitstride_sbrr_dirReg.kd
    .uniform_work_group_size: 1
    .uses_dynamic_stack: false
    .vgpr_count:     62
    .vgpr_spill_count: 0
    .wavefront_size: 64
amdhsa.target:   amdgcn-amd-amdhsa--gfx906
amdhsa.version:
  - 1
  - 2
...

	.end_amdgpu_metadata
